;; amdgpu-corpus repo=ROCm/rocFFT kind=compiled arch=gfx906 opt=O3
	.text
	.amdgcn_target "amdgcn-amd-amdhsa--gfx906"
	.amdhsa_code_object_version 6
	.protected	fft_rtc_back_len1296_factors_6_6_6_6_wgs_108_tpt_108_halfLds_dp_ip_CI_unitstride_sbrr_dirReg ; -- Begin function fft_rtc_back_len1296_factors_6_6_6_6_wgs_108_tpt_108_halfLds_dp_ip_CI_unitstride_sbrr_dirReg
	.globl	fft_rtc_back_len1296_factors_6_6_6_6_wgs_108_tpt_108_halfLds_dp_ip_CI_unitstride_sbrr_dirReg
	.p2align	8
	.type	fft_rtc_back_len1296_factors_6_6_6_6_wgs_108_tpt_108_halfLds_dp_ip_CI_unitstride_sbrr_dirReg,@function
fft_rtc_back_len1296_factors_6_6_6_6_wgs_108_tpt_108_halfLds_dp_ip_CI_unitstride_sbrr_dirReg: ; @fft_rtc_back_len1296_factors_6_6_6_6_wgs_108_tpt_108_halfLds_dp_ip_CI_unitstride_sbrr_dirReg
; %bb.0:
	s_load_dwordx2 s[2:3], s[4:5], 0x50
	s_load_dwordx4 s[8:11], s[4:5], 0x0
	s_load_dwordx2 s[12:13], s[4:5], 0x18
	v_mul_u32_u24_e32 v1, 0x25f, v0
	v_add_u32_sdwa v5, s6, v1 dst_sel:DWORD dst_unused:UNUSED_PAD src0_sel:DWORD src1_sel:WORD_1
	v_mov_b32_e32 v3, 0
	s_waitcnt lgkmcnt(0)
	v_cmp_lt_u64_e64 s[0:1], s[10:11], 2
	v_mov_b32_e32 v1, 0
	v_mov_b32_e32 v6, v3
	s_and_b64 vcc, exec, s[0:1]
	v_mov_b32_e32 v2, 0
	s_cbranch_vccnz .LBB0_8
; %bb.1:
	s_load_dwordx2 s[0:1], s[4:5], 0x10
	s_add_u32 s6, s12, 8
	s_addc_u32 s7, s13, 0
	v_mov_b32_e32 v1, 0
	v_mov_b32_e32 v2, 0
	s_waitcnt lgkmcnt(0)
	s_add_u32 s14, s0, 8
	s_addc_u32 s15, s1, 0
	s_mov_b64 s[16:17], 1
.LBB0_2:                                ; =>This Inner Loop Header: Depth=1
	s_load_dwordx2 s[18:19], s[14:15], 0x0
                                        ; implicit-def: $vgpr7_vgpr8
	s_waitcnt lgkmcnt(0)
	v_or_b32_e32 v4, s19, v6
	v_cmp_ne_u64_e32 vcc, 0, v[3:4]
	s_and_saveexec_b64 s[0:1], vcc
	s_xor_b64 s[20:21], exec, s[0:1]
	s_cbranch_execz .LBB0_4
; %bb.3:                                ;   in Loop: Header=BB0_2 Depth=1
	v_cvt_f32_u32_e32 v4, s18
	v_cvt_f32_u32_e32 v7, s19
	s_sub_u32 s0, 0, s18
	s_subb_u32 s1, 0, s19
	v_mac_f32_e32 v4, 0x4f800000, v7
	v_rcp_f32_e32 v4, v4
	v_mul_f32_e32 v4, 0x5f7ffffc, v4
	v_mul_f32_e32 v7, 0x2f800000, v4
	v_trunc_f32_e32 v7, v7
	v_mac_f32_e32 v4, 0xcf800000, v7
	v_cvt_u32_f32_e32 v7, v7
	v_cvt_u32_f32_e32 v4, v4
	v_mul_lo_u32 v8, s0, v7
	v_mul_hi_u32 v9, s0, v4
	v_mul_lo_u32 v11, s1, v4
	v_mul_lo_u32 v10, s0, v4
	v_add_u32_e32 v8, v9, v8
	v_add_u32_e32 v8, v8, v11
	v_mul_hi_u32 v9, v4, v10
	v_mul_lo_u32 v11, v4, v8
	v_mul_hi_u32 v13, v4, v8
	v_mul_hi_u32 v12, v7, v10
	v_mul_lo_u32 v10, v7, v10
	v_mul_hi_u32 v14, v7, v8
	v_add_co_u32_e32 v9, vcc, v9, v11
	v_addc_co_u32_e32 v11, vcc, 0, v13, vcc
	v_mul_lo_u32 v8, v7, v8
	v_add_co_u32_e32 v9, vcc, v9, v10
	v_addc_co_u32_e32 v9, vcc, v11, v12, vcc
	v_addc_co_u32_e32 v10, vcc, 0, v14, vcc
	v_add_co_u32_e32 v8, vcc, v9, v8
	v_addc_co_u32_e32 v9, vcc, 0, v10, vcc
	v_add_co_u32_e32 v4, vcc, v4, v8
	v_addc_co_u32_e32 v7, vcc, v7, v9, vcc
	v_mul_lo_u32 v8, s0, v7
	v_mul_hi_u32 v9, s0, v4
	v_mul_lo_u32 v10, s1, v4
	v_mul_lo_u32 v11, s0, v4
	v_add_u32_e32 v8, v9, v8
	v_add_u32_e32 v8, v8, v10
	v_mul_lo_u32 v12, v4, v8
	v_mul_hi_u32 v13, v4, v11
	v_mul_hi_u32 v14, v4, v8
	;; [unrolled: 1-line block ×3, first 2 shown]
	v_mul_lo_u32 v11, v7, v11
	v_mul_hi_u32 v9, v7, v8
	v_add_co_u32_e32 v12, vcc, v13, v12
	v_addc_co_u32_e32 v13, vcc, 0, v14, vcc
	v_mul_lo_u32 v8, v7, v8
	v_add_co_u32_e32 v11, vcc, v12, v11
	v_addc_co_u32_e32 v10, vcc, v13, v10, vcc
	v_addc_co_u32_e32 v9, vcc, 0, v9, vcc
	v_add_co_u32_e32 v8, vcc, v10, v8
	v_addc_co_u32_e32 v9, vcc, 0, v9, vcc
	v_add_co_u32_e32 v4, vcc, v4, v8
	v_addc_co_u32_e32 v9, vcc, v7, v9, vcc
	v_mad_u64_u32 v[7:8], s[0:1], v5, v9, 0
	v_mul_hi_u32 v10, v5, v4
	v_add_co_u32_e32 v11, vcc, v10, v7
	v_addc_co_u32_e32 v12, vcc, 0, v8, vcc
	v_mad_u64_u32 v[7:8], s[0:1], v6, v4, 0
	v_mad_u64_u32 v[9:10], s[0:1], v6, v9, 0
	v_add_co_u32_e32 v4, vcc, v11, v7
	v_addc_co_u32_e32 v4, vcc, v12, v8, vcc
	v_addc_co_u32_e32 v7, vcc, 0, v10, vcc
	v_add_co_u32_e32 v4, vcc, v4, v9
	v_addc_co_u32_e32 v9, vcc, 0, v7, vcc
	v_mul_lo_u32 v10, s19, v4
	v_mul_lo_u32 v11, s18, v9
	v_mad_u64_u32 v[7:8], s[0:1], s18, v4, 0
	v_add3_u32 v8, v8, v11, v10
	v_sub_u32_e32 v10, v6, v8
	v_mov_b32_e32 v11, s19
	v_sub_co_u32_e32 v7, vcc, v5, v7
	v_subb_co_u32_e64 v10, s[0:1], v10, v11, vcc
	v_subrev_co_u32_e64 v11, s[0:1], s18, v7
	v_subbrev_co_u32_e64 v10, s[0:1], 0, v10, s[0:1]
	v_cmp_le_u32_e64 s[0:1], s19, v10
	v_cndmask_b32_e64 v12, 0, -1, s[0:1]
	v_cmp_le_u32_e64 s[0:1], s18, v11
	v_cndmask_b32_e64 v11, 0, -1, s[0:1]
	v_cmp_eq_u32_e64 s[0:1], s19, v10
	v_cndmask_b32_e64 v10, v12, v11, s[0:1]
	v_add_co_u32_e64 v11, s[0:1], 2, v4
	v_addc_co_u32_e64 v12, s[0:1], 0, v9, s[0:1]
	v_add_co_u32_e64 v13, s[0:1], 1, v4
	v_addc_co_u32_e64 v14, s[0:1], 0, v9, s[0:1]
	v_subb_co_u32_e32 v8, vcc, v6, v8, vcc
	v_cmp_ne_u32_e64 s[0:1], 0, v10
	v_cmp_le_u32_e32 vcc, s19, v8
	v_cndmask_b32_e64 v10, v14, v12, s[0:1]
	v_cndmask_b32_e64 v12, 0, -1, vcc
	v_cmp_le_u32_e32 vcc, s18, v7
	v_cndmask_b32_e64 v7, 0, -1, vcc
	v_cmp_eq_u32_e32 vcc, s19, v8
	v_cndmask_b32_e32 v7, v12, v7, vcc
	v_cmp_ne_u32_e32 vcc, 0, v7
	v_cndmask_b32_e64 v7, v13, v11, s[0:1]
	v_cndmask_b32_e32 v8, v9, v10, vcc
	v_cndmask_b32_e32 v7, v4, v7, vcc
.LBB0_4:                                ;   in Loop: Header=BB0_2 Depth=1
	s_andn2_saveexec_b64 s[0:1], s[20:21]
	s_cbranch_execz .LBB0_6
; %bb.5:                                ;   in Loop: Header=BB0_2 Depth=1
	v_cvt_f32_u32_e32 v4, s18
	s_sub_i32 s20, 0, s18
	v_rcp_iflag_f32_e32 v4, v4
	v_mul_f32_e32 v4, 0x4f7ffffe, v4
	v_cvt_u32_f32_e32 v4, v4
	v_mul_lo_u32 v7, s20, v4
	v_mul_hi_u32 v7, v4, v7
	v_add_u32_e32 v4, v4, v7
	v_mul_hi_u32 v4, v5, v4
	v_mul_lo_u32 v7, v4, s18
	v_add_u32_e32 v8, 1, v4
	v_sub_u32_e32 v7, v5, v7
	v_subrev_u32_e32 v9, s18, v7
	v_cmp_le_u32_e32 vcc, s18, v7
	v_cndmask_b32_e32 v7, v7, v9, vcc
	v_cndmask_b32_e32 v4, v4, v8, vcc
	v_add_u32_e32 v8, 1, v4
	v_cmp_le_u32_e32 vcc, s18, v7
	v_cndmask_b32_e32 v7, v4, v8, vcc
	v_mov_b32_e32 v8, v3
.LBB0_6:                                ;   in Loop: Header=BB0_2 Depth=1
	s_or_b64 exec, exec, s[0:1]
	v_mul_lo_u32 v4, v8, s18
	v_mul_lo_u32 v11, v7, s19
	v_mad_u64_u32 v[9:10], s[0:1], v7, s18, 0
	s_load_dwordx2 s[0:1], s[6:7], 0x0
	s_add_u32 s16, s16, 1
	v_add3_u32 v4, v10, v11, v4
	v_sub_co_u32_e32 v5, vcc, v5, v9
	v_subb_co_u32_e32 v4, vcc, v6, v4, vcc
	s_waitcnt lgkmcnt(0)
	v_mul_lo_u32 v4, s0, v4
	v_mul_lo_u32 v6, s1, v5
	v_mad_u64_u32 v[1:2], s[0:1], s0, v5, v[1:2]
	s_addc_u32 s17, s17, 0
	s_add_u32 s6, s6, 8
	v_add3_u32 v2, v6, v2, v4
	v_mov_b32_e32 v4, s10
	v_mov_b32_e32 v5, s11
	s_addc_u32 s7, s7, 0
	v_cmp_ge_u64_e32 vcc, s[16:17], v[4:5]
	s_add_u32 s14, s14, 8
	s_addc_u32 s15, s15, 0
	s_cbranch_vccnz .LBB0_9
; %bb.7:                                ;   in Loop: Header=BB0_2 Depth=1
	v_mov_b32_e32 v5, v7
	v_mov_b32_e32 v6, v8
	s_branch .LBB0_2
.LBB0_8:
	v_mov_b32_e32 v8, v6
	v_mov_b32_e32 v7, v5
.LBB0_9:
	s_lshl_b64 s[0:1], s[10:11], 3
	s_add_u32 s0, s12, s0
	s_addc_u32 s1, s13, s1
	s_load_dwordx2 s[6:7], s[0:1], 0x0
	s_load_dwordx2 s[10:11], s[4:5], 0x20
                                        ; implicit-def: $vgpr10_vgpr11
                                        ; implicit-def: $vgpr22_vgpr23
                                        ; implicit-def: $vgpr14_vgpr15
                                        ; implicit-def: $vgpr18_vgpr19
                                        ; implicit-def: $vgpr38_vgpr39
                                        ; implicit-def: $vgpr42_vgpr43
                                        ; implicit-def: $vgpr34_vgpr35
                                        ; implicit-def: $vgpr46_vgpr47
                                        ; implicit-def: $vgpr30_vgpr31
                                        ; implicit-def: $vgpr26_vgpr27
	s_waitcnt lgkmcnt(0)
	v_mad_u64_u32 v[1:2], s[0:1], s6, v7, v[1:2]
	v_mul_lo_u32 v3, s6, v8
	v_mul_lo_u32 v4, s7, v7
	s_mov_b32 s0, 0x25ed098
	v_mul_hi_u32 v5, v0, s0
	v_cmp_gt_u64_e32 vcc, s[10:11], v[7:8]
	v_add3_u32 v2, v4, v2, v3
	v_lshlrev_b64 v[50:51], 4, v[1:2]
	v_mul_u32_u24_e32 v3, 0x6c, v5
	v_sub_u32_e32 v48, v0, v3
                                        ; implicit-def: $vgpr6_vgpr7
                                        ; implicit-def: $vgpr2_vgpr3
	s_and_saveexec_b64 s[4:5], vcc
	s_cbranch_execz .LBB0_11
; %bb.10:
	v_mov_b32_e32 v49, 0
	v_mov_b32_e32 v0, s3
	v_add_co_u32_e64 v2, s[0:1], s2, v50
	v_addc_co_u32_e64 v3, s[0:1], v0, v51, s[0:1]
	v_lshlrev_b64 v[0:1], 4, v[48:49]
	v_add_co_u32_e64 v52, s[0:1], v2, v0
	v_addc_co_u32_e64 v53, s[0:1], v3, v1, s[0:1]
	s_movk_i32 s0, 0x1000
	v_add_co_u32_e64 v54, s[0:1], s0, v52
	v_addc_co_u32_e64 v55, s[0:1], 0, v53, s[0:1]
	s_movk_i32 s0, 0x2000
	;; [unrolled: 3-line block ×4, first 2 shown]
	v_add_co_u32_e64 v60, s[0:1], s0, v52
	v_addc_co_u32_e64 v61, s[0:1], 0, v53, s[0:1]
	global_load_dwordx4 v[24:27], v[52:53], off
	global_load_dwordx4 v[0:3], v[52:53], off offset:1728
	global_load_dwordx4 v[28:31], v[52:53], off offset:3456
	global_load_dwordx4 v[4:7], v[54:55], off offset:1088
	global_load_dwordx4 v[44:47], v[54:55], off offset:2816
	global_load_dwordx4 v[16:19], v[56:57], off offset:448
	global_load_dwordx4 v[32:35], v[56:57], off offset:2176
	global_load_dwordx4 v[12:15], v[56:57], off offset:3904
	global_load_dwordx4 v[40:43], v[58:59], off offset:1536
	global_load_dwordx4 v[20:23], v[58:59], off offset:3264
	global_load_dwordx4 v[36:39], v[60:61], off offset:896
	global_load_dwordx4 v[8:11], v[60:61], off offset:2624
.LBB0_11:
	s_or_b64 exec, exec, s[4:5]
	s_waitcnt vmcnt(1)
	v_add_f64 v[52:53], v[38:39], v[34:35]
	v_add_f64 v[62:63], v[36:37], v[32:33]
	v_add_f64 v[64:65], v[32:33], -v[36:37]
	s_mov_b32 s0, 0xe8584caa
	s_mov_b32 s1, 0xbfebb67a
	;; [unrolled: 1-line block ×4, first 2 shown]
	v_add_f64 v[54:55], v[44:45], v[24:25]
	v_fma_f64 v[52:53], v[52:53], -0.5, v[30:31]
	v_add_f64 v[56:57], v[46:47], v[26:27]
	v_add_f64 v[58:59], v[40:41], v[44:45]
	;; [unrolled: 1-line block ×3, first 2 shown]
	v_add_f64 v[66:67], v[34:35], -v[38:39]
	v_fma_f64 v[62:63], v[62:63], -0.5, v[28:29]
	v_add_f64 v[28:29], v[32:33], v[28:29]
	v_add_f64 v[46:47], v[46:47], -v[42:43]
	v_fma_f64 v[68:69], v[64:65], s[4:5], v[52:53]
	v_fma_f64 v[32:33], v[64:65], s[0:1], v[52:53]
	v_add_f64 v[44:45], v[44:45], -v[40:41]
	v_add_f64 v[30:31], v[34:35], v[30:31]
	v_add_f64 v[34:35], v[40:41], v[54:55]
	;; [unrolled: 1-line block ×3, first 2 shown]
	v_fma_f64 v[24:25], v[58:59], -0.5, v[24:25]
	v_fma_f64 v[40:41], v[66:67], s[0:1], v[62:63]
	v_mul_f64 v[52:53], v[68:69], s[0:1]
	v_fma_f64 v[54:55], v[60:61], -0.5, v[26:27]
	v_fma_f64 v[56:57], v[66:67], s[4:5], v[62:63]
	v_mul_f64 v[26:27], v[32:33], s[0:1]
	v_add_f64 v[28:29], v[36:37], v[28:29]
	v_add_f64 v[58:59], v[38:39], v[30:31]
	v_fma_f64 v[36:37], v[46:47], s[0:1], v[24:25]
	v_mul_f64 v[30:31], v[40:41], s[4:5]
	v_fma_f64 v[38:39], v[40:41], 0.5, v[52:53]
	v_fma_f64 v[24:25], v[46:47], s[4:5], v[24:25]
	s_waitcnt vmcnt(0)
	v_add_f64 v[62:63], v[10:11], v[14:15]
	v_fma_f64 v[46:47], v[56:57], -0.5, v[26:27]
	v_mul_f64 v[40:41], v[32:33], -0.5
	v_add_f64 v[26:27], v[28:29], v[34:35]
	v_add_f64 v[32:33], v[34:35], -v[28:29]
	v_fma_f64 v[52:53], v[44:45], s[4:5], v[54:55]
	v_fma_f64 v[60:61], v[68:69], 0.5, v[30:31]
	v_add_f64 v[28:29], v[36:37], v[38:39]
	v_fma_f64 v[54:55], v[44:45], s[0:1], v[54:55]
	v_add_f64 v[30:31], v[24:25], v[46:47]
	v_add_f64 v[34:35], v[36:37], -v[38:39]
	v_add_f64 v[36:37], v[24:25], -v[46:47]
	v_add_f64 v[38:39], v[58:59], v[42:43]
	v_add_f64 v[44:45], v[42:43], -v[58:59]
	v_add_f64 v[24:25], v[8:9], v[12:13]
	v_fma_f64 v[46:47], v[62:63], -0.5, v[6:7]
	v_add_f64 v[58:59], v[12:13], -v[8:9]
	v_fma_f64 v[56:57], v[56:57], s[4:5], v[40:41]
	v_add_f64 v[64:65], v[14:15], -v[10:11]
	v_add_f64 v[62:63], v[20:21], v[16:17]
	v_add_f64 v[68:69], v[22:23], v[18:19]
	;; [unrolled: 1-line block ×3, first 2 shown]
	v_fma_f64 v[24:25], v[24:25], -0.5, v[4:5]
	v_add_f64 v[4:5], v[12:13], v[4:5]
	v_fma_f64 v[66:67], v[58:59], s[4:5], v[46:47]
	v_fma_f64 v[12:13], v[58:59], s[0:1], v[46:47]
	v_add_f64 v[42:43], v[54:55], v[56:57]
	v_add_f64 v[54:55], v[54:55], -v[56:57]
	v_add_f64 v[56:57], v[16:17], v[0:1]
	v_add_f64 v[52:53], v[52:53], -v[60:61]
	v_fma_f64 v[46:47], v[64:65], s[0:1], v[24:25]
	v_add_f64 v[60:61], v[18:19], v[2:3]
	v_mul_f64 v[58:59], v[66:67], s[0:1]
	v_add_f64 v[18:19], v[18:19], -v[22:23]
	v_fma_f64 v[0:1], v[62:63], -0.5, v[0:1]
	v_add_f64 v[6:7], v[14:15], v[6:7]
	v_add_f64 v[4:5], v[8:9], v[4:5]
	v_fma_f64 v[8:9], v[64:65], s[4:5], v[24:25]
	v_mul_f64 v[14:15], v[12:13], s[0:1]
	v_add_f64 v[16:17], v[16:17], -v[20:21]
	v_add_f64 v[20:21], v[20:21], v[56:57]
	v_fma_f64 v[56:57], v[46:47], 0.5, v[58:59]
	v_mul_f64 v[46:47], v[46:47], s[4:5]
	v_fma_f64 v[58:59], v[68:69], -0.5, v[2:3]
	v_add_f64 v[22:23], v[22:23], v[60:61]
	v_fma_f64 v[24:25], v[18:19], s[0:1], v[0:1]
	v_add_f64 v[60:61], v[10:11], v[6:7]
	v_mul_f64 v[6:7], v[12:13], -0.5
	v_fma_f64 v[10:11], v[18:19], s[4:5], v[0:1]
	v_fma_f64 v[12:13], v[8:9], -0.5, v[14:15]
	v_fma_f64 v[46:47], v[66:67], 0.5, v[46:47]
	v_fma_f64 v[62:63], v[16:17], s[4:5], v[58:59]
	v_add_f64 v[0:1], v[4:5], v[20:21]
	v_add_f64 v[2:3], v[24:25], v[56:57]
	v_fma_f64 v[58:59], v[16:17], s[0:1], v[58:59]
	v_fma_f64 v[64:65], v[8:9], s[4:5], v[6:7]
	v_add_f64 v[6:7], v[20:21], -v[4:5]
	v_add_f64 v[4:5], v[10:11], v[12:13]
	v_add_f64 v[8:9], v[24:25], -v[56:57]
	v_add_f64 v[10:11], v[10:11], -v[12:13]
	v_mul_u32_u24_e32 v12, 6, v48
	v_lshl_add_u32 v25, v12, 3, 0
	s_movk_i32 s6, 0xffd8
	ds_write_b128 v25, v[26:29]
	ds_write_b128 v25, v[30:33] offset:16
	ds_write_b128 v25, v[34:37] offset:32
	;; [unrolled: 1-line block ×5, first 2 shown]
	v_mad_i32_i24 v4, v48, s6, v25
	s_movk_i32 s6, 0xab
	v_mul_lo_u16_sdwa v6, v48, s6 dst_sel:DWORD dst_unused:UNUSED_PAD src0_sel:BYTE_0 src1_sel:DWORD
	v_add_f64 v[14:15], v[60:61], v[22:23]
	v_add_f64 v[16:17], v[62:63], v[46:47]
	v_lshrrev_b16_e32 v6, 10, v6
	v_add_f64 v[20:21], v[22:23], -v[60:61]
	v_add_f64 v[18:19], v[58:59], v[64:65]
	v_mul_lo_u16_e32 v7, 6, v6
	v_add_f64 v[56:57], v[62:63], -v[46:47]
	v_add_f64 v[58:59], v[58:59], -v[64:65]
	v_sub_u16_e32 v49, v48, v7
	v_mov_b32_e32 v7, 5
	v_mul_u32_u24_sdwa v10, v49, v7 dst_sel:DWORD dst_unused:UNUSED_PAD src0_sel:BYTE_0 src1_sel:DWORD
	v_add_u32_e32 v5, 0x400, v4
	v_add_u32_e32 v8, 0xc00, v4
	;; [unrolled: 1-line block ×5, first 2 shown]
	v_lshlrev_b32_e32 v22, 4, v10
	s_waitcnt lgkmcnt(0)
	s_barrier
	ds_read2_b64 v[0:3], v4 offset1:108
	ds_read2_b64 v[26:29], v5 offset0:88 offset1:196
	ds_read2_b64 v[30:33], v8 offset0:48 offset1:156
	ds_read2_b64 v[34:37], v9 offset0:136 offset1:244
	ds_read2_b64 v[60:63], v12 offset0:96 offset1:204
	ds_read2_b64 v[64:67], v13 offset0:56 offset1:164
	s_waitcnt lgkmcnt(0)
	s_barrier
	ds_write_b128 v25, v[38:41]
	ds_write_b128 v25, v[42:45] offset:16
	ds_write_b128 v25, v[52:55] offset:32
	;; [unrolled: 1-line block ×5, first 2 shown]
	s_waitcnt lgkmcnt(0)
	s_barrier
	global_load_dwordx4 v[14:17], v22, s[8:9]
	v_add_u32_e32 v24, 0x6c, v48
	v_mul_lo_u16_sdwa v10, v24, s6 dst_sel:DWORD dst_unused:UNUSED_PAD src0_sel:BYTE_0 src1_sel:DWORD
	v_lshrrev_b16_e32 v82, 10, v10
	v_mul_lo_u16_e32 v10, 6, v82
	v_sub_u16_e32 v83, v24, v10
	v_mul_u32_u24_sdwa v10, v83, v7 dst_sel:DWORD dst_unused:UNUSED_PAD src0_sel:BYTE_0 src1_sel:DWORD
	v_lshlrev_b32_e32 v78, 4, v10
	global_load_dwordx4 v[18:21], v78, s[8:9]
	global_load_dwordx4 v[38:41], v22, s[8:9] offset:16
	global_load_dwordx4 v[42:45], v78, s[8:9] offset:16
	;; [unrolled: 1-line block ×4, first 2 shown]
	ds_read2_b64 v[68:71], v5 offset0:88 offset1:196
	global_load_dwordx4 v[72:75], v22, s[8:9] offset:48
	s_movk_i32 s10, 0x1000
	s_movk_i32 s6, 0x2000
	;; [unrolled: 1-line block ×3, first 2 shown]
	s_waitcnt vmcnt(6) lgkmcnt(0)
	v_mul_f64 v[10:11], v[68:69], v[16:17]
	v_mul_f64 v[16:17], v[26:27], v[16:17]
	v_fma_f64 v[10:11], v[26:27], v[14:15], v[10:11]
	v_fma_f64 v[46:47], v[68:69], v[14:15], -v[16:17]
	global_load_dwordx4 v[14:17], v22, s[8:9] offset:64
	s_waitcnt vmcnt(6)
	v_mul_f64 v[22:23], v[70:71], v[20:21]
	v_mul_f64 v[26:27], v[28:29], v[20:21]
	v_fma_f64 v[68:69], v[28:29], v[18:19], v[22:23]
	ds_read2_b64 v[20:23], v8 offset0:48 offset1:156
	v_fma_f64 v[70:71], v[70:71], v[18:19], -v[26:27]
	global_load_dwordx4 v[26:29], v78, s[8:9] offset:48
	s_waitcnt vmcnt(6) lgkmcnt(0)
	v_mul_f64 v[18:19], v[20:21], v[40:41]
	v_mul_f64 v[40:41], v[30:31], v[40:41]
	v_fma_f64 v[76:77], v[30:31], v[38:39], v[18:19]
	s_waitcnt vmcnt(5)
	v_mul_f64 v[18:19], v[22:23], v[44:45]
	v_fma_f64 v[38:39], v[20:21], v[38:39], -v[40:41]
	v_mul_f64 v[30:31], v[32:33], v[44:45]
	s_waitcnt vmcnt(4)
	v_mul_f64 v[44:45], v[34:35], v[54:55]
	v_fma_f64 v[40:41], v[32:33], v[42:43], v[18:19]
	global_load_dwordx4 v[18:21], v78, s[8:9] offset:64
	v_fma_f64 v[22:23], v[22:23], v[42:43], -v[30:31]
	ds_read2_b64 v[30:33], v9 offset0:136 offset1:244
	s_waitcnt lgkmcnt(0)
	v_mul_f64 v[42:43], v[30:31], v[54:55]
	v_fma_f64 v[44:45], v[30:31], v[52:53], -v[44:45]
	s_waitcnt vmcnt(4)
	v_mul_f64 v[30:31], v[32:33], v[58:59]
	v_fma_f64 v[42:43], v[34:35], v[52:53], v[42:43]
	v_mul_f64 v[52:53], v[36:37], v[58:59]
	s_waitcnt vmcnt(3)
	v_mul_f64 v[58:59], v[60:61], v[74:75]
	v_fma_f64 v[54:55], v[36:37], v[56:57], v[30:31]
	ds_read2_b64 v[34:37], v12 offset0:96 offset1:204
	v_fma_f64 v[52:53], v[32:33], v[56:57], -v[52:53]
	ds_read2_b64 v[30:33], v13 offset0:56 offset1:164
	s_waitcnt lgkmcnt(1)
	v_mul_f64 v[56:57], v[34:35], v[74:75]
	v_fma_f64 v[34:35], v[34:35], v[72:73], -v[58:59]
	v_fma_f64 v[56:57], v[60:61], v[72:73], v[56:57]
	s_waitcnt vmcnt(2) lgkmcnt(0)
	v_mul_f64 v[58:59], v[30:31], v[16:17]
	v_mul_f64 v[16:17], v[64:65], v[16:17]
	v_fma_f64 v[58:59], v[64:65], v[14:15], v[58:59]
	v_fma_f64 v[30:31], v[30:31], v[14:15], -v[16:17]
	s_waitcnt vmcnt(1)
	v_mul_f64 v[14:15], v[36:37], v[28:29]
	v_mul_f64 v[16:17], v[62:63], v[28:29]
	v_fma_f64 v[60:61], v[62:63], v[26:27], v[14:15]
	v_add_f64 v[14:15], v[44:45], v[30:31]
	v_fma_f64 v[62:63], v[36:37], v[26:27], -v[16:17]
	v_add_f64 v[16:17], v[42:43], v[58:59]
	v_add_f64 v[26:27], v[42:43], -v[58:59]
	v_add_f64 v[36:37], v[10:11], v[42:43]
	v_add_f64 v[42:43], v[44:45], -v[30:31]
	v_add_f64 v[44:45], v[46:47], v[44:45]
	v_fma_f64 v[28:29], v[14:15], -0.5, v[46:47]
	v_fma_f64 v[10:11], v[16:17], -0.5, v[10:11]
	v_add_f64 v[16:17], v[0:1], v[76:77]
	s_waitcnt vmcnt(0)
	v_mul_f64 v[14:15], v[32:33], v[20:21]
	v_mul_f64 v[20:21], v[66:67], v[20:21]
	v_add_f64 v[44:45], v[44:45], v[30:31]
	v_fma_f64 v[64:65], v[26:27], s[4:5], v[28:29]
	v_fma_f64 v[66:67], v[66:67], v[18:19], v[14:15]
	v_add_f64 v[14:15], v[76:77], v[56:57]
	v_fma_f64 v[72:73], v[32:33], v[18:19], -v[20:21]
	v_add_f64 v[18:19], v[36:37], v[58:59]
	v_fma_f64 v[20:21], v[42:43], s[0:1], v[10:11]
	v_mul_f64 v[32:33], v[64:65], s[0:1]
	v_add_f64 v[36:37], v[38:39], -v[34:35]
	v_mul_u32_u24_e32 v58, 0x120, v6
	v_mov_b32_e32 v6, 3
	v_fma_f64 v[0:1], v[14:15], -0.5, v[0:1]
	v_lshlrev_b32_sdwa v49, v6, v49 dst_sel:DWORD dst_unused:UNUSED_PAD src0_sel:DWORD src1_sel:BYTE_0
	v_add3_u32 v49, 0, v58, v49
	v_add_f64 v[58:59], v[16:17], v[56:57]
	v_fma_f64 v[32:33], v[20:21], 0.5, v[32:33]
	ds_read2_b64 v[14:17], v4 offset1:108
	s_waitcnt lgkmcnt(0)
	s_barrier
	v_fma_f64 v[74:75], v[36:37], s[0:1], v[0:1]
	v_fma_f64 v[10:11], v[42:43], s[4:5], v[10:11]
	v_add_f64 v[78:79], v[58:59], v[18:19]
	v_fma_f64 v[0:1], v[36:37], s[4:5], v[0:1]
	v_add_f64 v[18:19], v[58:59], -v[18:19]
	v_add_f64 v[36:37], v[52:53], v[72:73]
	v_add_f64 v[42:43], v[54:55], -v[66:67]
	v_add_f64 v[80:81], v[74:75], v[32:33]
	v_add_f64 v[32:33], v[74:75], -v[32:33]
	v_mul_f64 v[46:47], v[64:65], 0.5
	v_add_f64 v[56:57], v[76:77], -v[56:57]
	v_mul_u32_u24_e32 v74, 0x120, v82
	v_lshlrev_b32_sdwa v75, v6, v83 dst_sel:DWORD dst_unused:UNUSED_PAD src0_sel:DWORD src1_sel:BYTE_0
	v_fma_f64 v[36:37], v[36:37], -0.5, v[70:71]
	ds_write2_b64 v49, v[78:79], v[80:81] offset1:6
	v_fma_f64 v[78:79], v[26:27], s[0:1], v[28:29]
	v_add3_u32 v80, 0, v74, v75
	v_fma_f64 v[46:47], v[20:21], s[4:5], v[46:47]
	v_fma_f64 v[58:59], v[42:43], s[4:5], v[36:37]
	;; [unrolled: 1-line block ×3, first 2 shown]
	v_add_f64 v[36:37], v[22:23], -v[62:63]
	v_mul_f64 v[26:27], v[78:79], s[0:1]
	v_mul_f64 v[76:77], v[78:79], -0.5
	v_fma_f64 v[26:27], v[10:11], -0.5, v[26:27]
	v_fma_f64 v[10:11], v[10:11], s[4:5], v[76:77]
	v_add_f64 v[28:29], v[0:1], v[26:27]
	v_add_f64 v[0:1], v[0:1], -v[26:27]
	ds_write2_b64 v49, v[28:29], v[18:19] offset0:12 offset1:18
	v_add_f64 v[28:29], v[54:55], v[66:67]
	v_add_f64 v[18:19], v[40:41], v[60:61]
	ds_write2_b64 v49, v[32:33], v[0:1] offset0:24 offset1:30
	v_fma_f64 v[26:27], v[28:29], -0.5, v[68:69]
	v_add_f64 v[28:29], v[68:69], v[54:55]
	v_add_f64 v[54:55], v[52:53], -v[72:73]
	v_fma_f64 v[18:19], v[18:19], -0.5, v[2:3]
	v_add_f64 v[2:3], v[2:3], v[40:41]
	v_add_f64 v[52:53], v[70:71], v[52:53]
	v_add_f64 v[40:41], v[40:41], -v[60:61]
	v_add_f64 v[28:29], v[28:29], v[66:67]
	v_fma_f64 v[66:67], v[54:55], s[0:1], v[26:27]
	v_fma_f64 v[54:55], v[54:55], s[4:5], v[26:27]
	v_mul_f64 v[26:27], v[42:43], s[0:1]
	v_fma_f64 v[68:69], v[36:37], s[0:1], v[18:19]
	v_fma_f64 v[18:19], v[36:37], s[4:5], v[18:19]
	v_add_f64 v[2:3], v[2:3], v[60:61]
	v_mul_f64 v[36:37], v[58:59], s[0:1]
	v_mul_f64 v[58:59], v[58:59], 0.5
	v_mul_f64 v[42:43], v[42:43], -0.5
	v_add_f64 v[52:53], v[52:53], v[72:73]
	v_fma_f64 v[26:27], v[54:55], -0.5, v[26:27]
	v_add_f64 v[0:1], v[2:3], v[28:29]
	v_add_f64 v[2:3], v[2:3], -v[28:29]
	v_fma_f64 v[36:37], v[66:67], 0.5, v[36:37]
	v_fma_f64 v[42:43], v[54:55], s[4:5], v[42:43]
	v_add_f64 v[28:29], v[18:19], v[26:27]
	v_add_f64 v[18:19], v[18:19], -v[26:27]
	v_add_f64 v[26:27], v[14:15], v[38:39]
	v_add_f64 v[38:39], v[38:39], v[34:35]
	;; [unrolled: 1-line block ×3, first 2 shown]
	v_add_f64 v[36:37], v[68:69], -v[36:37]
	ds_write2_b64 v80, v[0:1], v[32:33] offset1:6
	ds_write2_b64 v80, v[28:29], v[2:3] offset0:12 offset1:18
	ds_write2_b64 v80, v[36:37], v[18:19] offset0:24 offset1:30
	v_fma_f64 v[38:39], v[38:39], -0.5, v[14:15]
	v_add_f64 v[14:15], v[22:23], v[62:63]
	v_add_f64 v[22:23], v[16:17], v[22:23]
	;; [unrolled: 1-line block ×3, first 2 shown]
	s_waitcnt lgkmcnt(0)
	s_barrier
	ds_read2_b64 v[0:3], v4 offset1:108
	ds_read2_b64 v[18:21], v5 offset0:88 offset1:196
	ds_read2_b64 v[26:29], v8 offset0:48 offset1:156
	;; [unrolled: 1-line block ×4, first 2 shown]
	v_fma_f64 v[68:69], v[56:57], s[4:5], v[38:39]
	v_fma_f64 v[74:75], v[14:15], -0.5, v[16:17]
	v_fma_f64 v[38:39], v[56:57], s[0:1], v[38:39]
	v_add_f64 v[22:23], v[22:23], v[62:63]
	v_fma_f64 v[56:57], v[66:67], s[4:5], v[58:59]
	v_add_f64 v[78:79], v[64:65], v[44:45]
	v_add_f64 v[44:45], v[64:65], -v[44:45]
	ds_read2_b64 v[14:17], v13 offset0:56 offset1:164
	v_add_f64 v[70:71], v[68:69], v[46:47]
	v_fma_f64 v[58:59], v[40:41], s[4:5], v[74:75]
	v_fma_f64 v[40:41], v[40:41], s[0:1], v[74:75]
	v_add_f64 v[54:55], v[38:39], v[10:11]
	v_add_f64 v[46:47], v[68:69], -v[46:47]
	v_add_f64 v[10:11], v[38:39], -v[10:11]
	v_add_f64 v[38:39], v[22:23], v[52:53]
	v_add_f64 v[22:23], v[22:23], -v[52:53]
	s_waitcnt lgkmcnt(0)
	v_add_f64 v[52:53], v[58:59], v[56:57]
	v_add_f64 v[56:57], v[58:59], -v[56:57]
	v_add_f64 v[58:59], v[40:41], v[42:43]
	v_add_f64 v[40:41], v[40:41], -v[42:43]
	s_barrier
	ds_write2_b64 v49, v[78:79], v[70:71] offset1:6
	ds_write2_b64 v49, v[54:55], v[44:45] offset0:12 offset1:18
	ds_write2_b64 v49, v[46:47], v[10:11] offset0:24 offset1:30
	ds_write2_b64 v80, v[38:39], v[52:53] offset1:6
	ds_write2_b64 v80, v[58:59], v[22:23] offset0:12 offset1:18
	ds_write2_b64 v80, v[56:57], v[40:41] offset0:24 offset1:30
	v_mov_b32_e32 v10, 57
	v_mul_lo_u16_sdwa v11, v48, v10 dst_sel:DWORD dst_unused:UNUSED_PAD src0_sel:BYTE_0 src1_sel:DWORD
	v_lshrrev_b16_e32 v49, 11, v11
	v_mul_lo_u16_e32 v11, 36, v49
	v_sub_u16_e32 v76, v48, v11
	v_mul_u32_u24_sdwa v11, v76, v7 dst_sel:DWORD dst_unused:UNUSED_PAD src0_sel:BYTE_0 src1_sel:DWORD
	v_lshlrev_b32_e32 v46, 4, v11
	s_waitcnt lgkmcnt(0)
	s_barrier
	global_load_dwordx4 v[38:41], v46, s[8:9] offset:480
	v_mul_lo_u16_sdwa v10, v24, v10 dst_sel:DWORD dst_unused:UNUSED_PAD src0_sel:BYTE_0 src1_sel:DWORD
	v_lshrrev_b16_e32 v80, 11, v10
	v_mul_lo_u16_e32 v10, 36, v80
	v_sub_u16_e32 v81, v24, v10
	v_mul_u32_u24_sdwa v7, v81, v7 dst_sel:DWORD dst_unused:UNUSED_PAD src0_sel:BYTE_0 src1_sel:DWORD
	v_lshlrev_b32_e32 v7, 4, v7
	global_load_dwordx4 v[42:45], v7, s[8:9] offset:480
	global_load_dwordx4 v[52:55], v46, s[8:9] offset:496
	;; [unrolled: 1-line block ×4, first 2 shown]
	ds_read2_b64 v[64:67], v5 offset0:88 offset1:196
	global_load_dwordx4 v[68:71], v7, s[8:9] offset:512
	global_load_dwordx4 v[72:75], v46, s[8:9] offset:528
	s_waitcnt vmcnt(6) lgkmcnt(0)
	v_mul_f64 v[10:11], v[64:65], v[40:41]
	v_mul_f64 v[22:23], v[18:19], v[40:41]
	v_fma_f64 v[10:11], v[18:19], v[38:39], v[10:11]
	v_fma_f64 v[22:23], v[64:65], v[38:39], -v[22:23]
	global_load_dwordx4 v[38:41], v46, s[8:9] offset:544
	s_waitcnt vmcnt(6)
	v_mul_f64 v[18:19], v[66:67], v[44:45]
	v_mul_f64 v[44:45], v[20:21], v[44:45]
	v_fma_f64 v[46:47], v[20:21], v[42:43], v[18:19]
	ds_read2_b64 v[18:21], v8 offset0:48 offset1:156
	v_fma_f64 v[64:65], v[66:67], v[42:43], -v[44:45]
	global_load_dwordx4 v[42:45], v7, s[8:9] offset:528
	s_waitcnt vmcnt(6) lgkmcnt(0)
	v_mul_f64 v[66:67], v[18:19], v[54:55]
	v_mul_f64 v[54:55], v[26:27], v[54:55]
	v_fma_f64 v[66:67], v[26:27], v[52:53], v[66:67]
	v_fma_f64 v[52:53], v[18:19], v[52:53], -v[54:55]
	s_waitcnt vmcnt(5)
	v_mul_f64 v[18:19], v[20:21], v[58:59]
	v_fma_f64 v[54:55], v[28:29], v[56:57], v[18:19]
	v_mul_f64 v[18:19], v[28:29], v[58:59]
	global_load_dwordx4 v[26:29], v7, s[8:9] offset:544
	v_mul_u32_u24_e32 v7, 0x6c0, v49
	v_fma_f64 v[56:57], v[20:21], v[56:57], -v[18:19]
	ds_read2_b64 v[18:21], v9 offset0:136 offset1:244
	s_waitcnt vmcnt(5) lgkmcnt(0)
	v_mul_f64 v[58:59], v[18:19], v[62:63]
	v_mul_f64 v[62:63], v[30:31], v[62:63]
	v_fma_f64 v[58:59], v[30:31], v[60:61], v[58:59]
	v_fma_f64 v[60:61], v[18:19], v[60:61], -v[62:63]
	s_waitcnt vmcnt(4)
	v_mul_f64 v[18:19], v[20:21], v[70:71]
	v_mul_f64 v[62:63], v[32:33], v[70:71]
	v_fma_f64 v[70:71], v[32:33], v[68:69], v[18:19]
	ds_read2_b64 v[30:33], v12 offset0:96 offset1:204
	v_fma_f64 v[62:63], v[20:21], v[68:69], -v[62:63]
	ds_read2_b64 v[18:21], v13 offset0:56 offset1:164
	s_waitcnt vmcnt(3) lgkmcnt(1)
	v_mul_f64 v[68:69], v[30:31], v[74:75]
	v_mul_f64 v[74:75], v[34:35], v[74:75]
	v_fma_f64 v[34:35], v[34:35], v[72:73], v[68:69]
	s_waitcnt vmcnt(2) lgkmcnt(0)
	v_mul_f64 v[68:69], v[18:19], v[40:41]
	v_mul_f64 v[40:41], v[14:15], v[40:41]
	v_fma_f64 v[30:31], v[30:31], v[72:73], -v[74:75]
	v_fma_f64 v[14:15], v[14:15], v[38:39], v[68:69]
	v_fma_f64 v[18:19], v[18:19], v[38:39], -v[40:41]
	s_waitcnt vmcnt(1)
	v_mul_f64 v[38:39], v[32:33], v[44:45]
	v_mul_f64 v[40:41], v[36:37], v[44:45]
	v_add_f64 v[44:45], v[58:59], -v[14:15]
	v_add_f64 v[68:69], v[60:61], -v[18:19]
	v_fma_f64 v[36:37], v[36:37], v[42:43], v[38:39]
	v_add_f64 v[38:39], v[60:61], v[18:19]
	v_fma_f64 v[32:33], v[32:33], v[42:43], -v[40:41]
	v_add_f64 v[42:43], v[58:59], v[14:15]
	v_fma_f64 v[38:39], v[38:39], -0.5, v[22:23]
	s_waitcnt vmcnt(0)
	v_mul_f64 v[40:41], v[20:21], v[28:29]
	v_mul_f64 v[28:29], v[16:17], v[28:29]
	v_fma_f64 v[72:73], v[44:45], s[4:5], v[38:39]
	v_fma_f64 v[38:39], v[44:45], s[0:1], v[38:39]
	;; [unrolled: 1-line block ×3, first 2 shown]
	v_fma_f64 v[16:17], v[42:43], -0.5, v[10:11]
	v_add_f64 v[42:43], v[66:67], v[34:35]
	v_fma_f64 v[26:27], v[20:21], v[26:27], -v[28:29]
	v_add_f64 v[10:11], v[10:11], v[58:59]
	v_add_f64 v[20:21], v[0:1], v[66:67]
	v_add_f64 v[58:59], v[52:53], -v[30:31]
	v_mul_f64 v[74:75], v[38:39], s[0:1]
	v_mul_f64 v[38:39], v[38:39], -0.5
	v_fma_f64 v[28:29], v[68:69], s[0:1], v[16:17]
	v_fma_f64 v[0:1], v[42:43], -0.5, v[0:1]
	v_mul_f64 v[42:43], v[72:73], s[0:1]
	v_add_f64 v[10:11], v[10:11], v[14:15]
	v_add_f64 v[20:21], v[20:21], v[34:35]
	v_fma_f64 v[68:69], v[68:69], s[4:5], v[16:17]
	v_lshlrev_b32_sdwa v14, v6, v76 dst_sel:DWORD dst_unused:UNUSED_PAD src0_sel:DWORD src1_sel:BYTE_0
	v_add3_u32 v49, 0, v7, v14
	ds_read2_b64 v[14:17], v4 offset1:108
	v_fma_f64 v[44:45], v[58:59], s[0:1], v[0:1]
	v_fma_f64 v[42:43], v[28:29], 0.5, v[42:43]
	v_fma_f64 v[0:1], v[58:59], s[4:5], v[0:1]
	v_add_f64 v[76:77], v[20:21], v[10:11]
	v_fma_f64 v[58:59], v[68:69], -0.5, v[74:75]
	v_add_f64 v[74:75], v[62:63], v[26:27]
	s_waitcnt lgkmcnt(0)
	s_barrier
	v_add_f64 v[78:79], v[44:45], v[42:43]
	v_add_f64 v[10:11], v[20:21], -v[10:11]
	v_add_f64 v[42:43], v[44:45], -v[42:43]
	v_add_f64 v[20:21], v[0:1], v[58:59]
	v_add_f64 v[44:45], v[70:71], v[40:41]
	v_fma_f64 v[74:75], v[74:75], -0.5, v[64:65]
	v_add_f64 v[0:1], v[0:1], -v[58:59]
	v_add_f64 v[58:59], v[54:55], v[36:37]
	ds_write2_b64 v49, v[76:77], v[78:79] offset1:36
	v_add_f64 v[76:77], v[70:71], -v[40:41]
	v_add_f64 v[34:35], v[66:67], -v[34:35]
	ds_write2_b64 v49, v[20:21], v[10:11] offset0:72 offset1:108
	v_fma_f64 v[10:11], v[44:45], -0.5, v[46:47]
	v_add_f64 v[20:21], v[62:63], -v[26:27]
	ds_write2_b64 v49, v[42:43], v[0:1] offset0:144 offset1:180
	v_fma_f64 v[0:1], v[58:59], -0.5, v[2:3]
	v_add_f64 v[2:3], v[2:3], v[54:55]
	v_fma_f64 v[44:45], v[76:77], s[4:5], v[74:75]
	v_fma_f64 v[42:43], v[76:77], s[0:1], v[74:75]
	v_add_f64 v[46:47], v[46:47], v[70:71]
	v_add_f64 v[76:77], v[56:57], -v[32:33]
	v_fma_f64 v[70:71], v[20:21], s[0:1], v[10:11]
	v_fma_f64 v[78:79], v[20:21], s[4:5], v[10:11]
	v_add_f64 v[58:59], v[52:53], v[30:31]
	v_add_f64 v[20:21], v[14:15], v[52:53]
	v_mul_f64 v[74:75], v[44:45], s[0:1]
	v_mul_f64 v[10:11], v[42:43], s[0:1]
	v_add_f64 v[52:53], v[56:57], v[32:33]
	v_add_f64 v[40:41], v[46:47], v[40:41]
	;; [unrolled: 1-line block ×4, first 2 shown]
	v_fma_f64 v[58:59], v[58:59], -0.5, v[14:15]
	v_add_f64 v[30:31], v[20:21], v[30:31]
	v_fma_f64 v[46:47], v[70:71], 0.5, v[74:75]
	v_fma_f64 v[74:75], v[76:77], s[0:1], v[0:1]
	v_fma_f64 v[0:1], v[76:77], s[4:5], v[0:1]
	v_fma_f64 v[10:11], v[78:79], -0.5, v[10:11]
	v_fma_f64 v[52:53], v[52:53], -0.5, v[16:17]
	v_lshlrev_b32_sdwa v76, v6, v81 dst_sel:DWORD dst_unused:UNUSED_PAD src0_sel:DWORD src1_sel:BYTE_0
	v_add_f64 v[6:7], v[2:3], v[40:41]
	v_add_f64 v[2:3], v[2:3], -v[40:41]
	v_add_f64 v[36:37], v[54:55], -v[36:37]
	v_add_f64 v[14:15], v[74:75], v[46:47]
	v_add_f64 v[40:41], v[74:75], -v[46:47]
	v_add_f64 v[16:17], v[0:1], v[10:11]
	;; [unrolled: 2-line block ×3, first 2 shown]
	v_mul_f64 v[22:23], v[72:73], 0.5
	v_mul_u32_u24_e32 v46, 0x6c0, v80
	v_add3_u32 v72, 0, v46, v76
	ds_write2_b64 v72, v[6:7], v[14:15] offset1:36
	ds_write2_b64 v72, v[16:17], v[2:3] offset0:72 offset1:108
	ds_write2_b64 v72, v[40:41], v[0:1] offset0:144 offset1:180
	v_fma_f64 v[46:47], v[34:35], s[4:5], v[58:59]
	s_waitcnt lgkmcnt(0)
	v_add_f64 v[40:41], v[10:11], v[18:19]
	v_fma_f64 v[28:29], v[28:29], s[4:5], v[22:23]
	s_barrier
	ds_read2_b64 v[0:3], v4 offset1:108
	ds_read2_b64 v[4:7], v5 offset0:88 offset1:196
	ds_read2_b64 v[20:23], v8 offset0:48 offset1:156
	;; [unrolled: 1-line block ×5, first 2 shown]
	s_waitcnt lgkmcnt(0)
	s_barrier
	v_add_f64 v[60:61], v[30:31], v[40:41]
	v_add_f64 v[66:67], v[46:47], v[28:29]
	v_mul_f64 v[44:45], v[44:45], 0.5
	v_mul_f64 v[42:43], v[42:43], -0.5
	v_fma_f64 v[34:35], v[34:35], s[0:1], v[58:59]
	v_fma_f64 v[38:39], v[68:69], s[4:5], v[38:39]
	v_add_f64 v[30:31], v[30:31], -v[40:41]
	v_add_f64 v[32:33], v[56:57], v[32:33]
	ds_write2_b64 v49, v[60:61], v[66:67] offset1:36
	v_add_f64 v[60:61], v[64:65], v[62:63]
	v_fma_f64 v[40:41], v[36:37], s[4:5], v[52:53]
	v_fma_f64 v[44:45], v[70:71], s[4:5], v[44:45]
	;; [unrolled: 1-line block ×4, first 2 shown]
	v_add_f64 v[28:29], v[46:47], -v[28:29]
	v_add_f64 v[46:47], v[34:35], v[38:39]
	v_add_f64 v[34:35], v[34:35], -v[38:39]
	v_add_f64 v[26:27], v[60:61], v[26:27]
	v_add_f64 v[38:39], v[32:33], v[26:27]
	v_add_f64 v[26:27], v[32:33], -v[26:27]
	v_add_f64 v[32:33], v[40:41], v[44:45]
	v_add_f64 v[40:41], v[40:41], -v[44:45]
	;; [unrolled: 2-line block ×3, first 2 shown]
	ds_write2_b64 v49, v[46:47], v[30:31] offset0:72 offset1:108
	ds_write2_b64 v49, v[28:29], v[34:35] offset0:144 offset1:180
	ds_write2_b64 v72, v[38:39], v[32:33] offset1:36
	ds_write2_b64 v72, v[44:45], v[26:27] offset0:72 offset1:108
	ds_write2_b64 v72, v[40:41], v[36:37] offset0:144 offset1:180
	s_waitcnt lgkmcnt(0)
	s_barrier
	s_and_saveexec_b64 s[12:13], vcc
	s_cbranch_execz .LBB0_13
; %bb.12:
	v_mul_u32_u24_e32 v26, 5, v24
	v_lshlrev_b32_e32 v46, 4, v26
	global_load_dwordx4 v[26:29], v46, s[8:9] offset:3376
	v_mul_u32_u24_e32 v30, 5, v48
	v_lshlrev_b32_e32 v47, 4, v30
	global_load_dwordx4 v[30:33], v47, s[8:9] offset:3376
	global_load_dwordx4 v[34:37], v46, s[8:9] offset:3408
	;; [unrolled: 1-line block ×9, first 2 shown]
	v_mul_i32_i24_e32 v46, 0xffffffd8, v48
	v_add_u32_e32 v49, v25, v46
	v_add_u32_e32 v25, 0xc00, v49
	ds_read2_b64 v[72:75], v25 offset0:48 offset1:156
	v_add_u32_e32 v25, 0x1800, v49
	s_waitcnt vmcnt(8)
	v_mul_f64 v[76:77], v[20:21], v[32:33]
	s_waitcnt lgkmcnt(0)
	v_mul_f64 v[32:33], v[72:73], v[32:33]
	v_mul_f64 v[46:47], v[22:23], v[28:29]
	v_mul_f64 v[28:29], v[74:75], v[28:29]
	v_fma_f64 v[72:73], v[72:73], v[30:31], -v[76:77]
	v_add_u32_e32 v76, 0x1000, v49
	v_add_u32_e32 v77, 0x2000, v49
	v_fma_f64 v[46:47], v[74:75], v[26:27], -v[46:47]
	v_fma_f64 v[22:23], v[22:23], v[26:27], v[28:29]
	ds_read2_b64 v[25:28], v25 offset0:96 offset1:204
	s_waitcnt vmcnt(7)
	v_mul_f64 v[74:75], v[18:19], v[36:37]
	v_fma_f64 v[29:30], v[20:21], v[30:31], v[32:33]
	s_waitcnt vmcnt(6)
	v_mul_f64 v[31:32], v[16:17], v[40:41]
	s_waitcnt lgkmcnt(0)
	v_mul_f64 v[20:21], v[27:28], v[36:37]
	v_mul_f64 v[36:37], v[25:26], v[40:41]
	v_fma_f64 v[40:41], v[27:28], v[34:35], -v[74:75]
	s_waitcnt vmcnt(5)
	v_mul_f64 v[74:75], v[10:11], v[44:45]
	v_fma_f64 v[31:32], v[25:26], v[38:39], -v[31:32]
	ds_read2_b64 v[25:28], v77 offset0:56 offset1:164
	v_fma_f64 v[33:34], v[18:19], v[34:35], v[20:21]
	ds_read2_b64 v[18:21], v76 offset0:136 offset1:244
	v_fma_f64 v[35:36], v[16:17], v[38:39], v[36:37]
	s_waitcnt vmcnt(4)
	v_mul_f64 v[37:38], v[14:15], v[54:55]
	v_add_u32_e32 v39, 0x400, v49
	s_waitcnt lgkmcnt(0)
	v_mul_f64 v[16:17], v[20:21], v[44:45]
	v_mul_f64 v[44:45], v[27:28], v[54:55]
	v_fma_f64 v[20:21], v[20:21], v[42:43], -v[74:75]
	s_waitcnt vmcnt(1)
	v_mul_f64 v[54:55], v[25:26], v[66:67]
	v_fma_f64 v[27:28], v[27:28], v[52:53], -v[37:38]
	v_fma_f64 v[10:11], v[10:11], v[42:43], v[16:17]
	v_mul_f64 v[42:43], v[6:7], v[56:57]
	v_mul_f64 v[6:7], v[6:7], v[58:59]
	v_fma_f64 v[37:38], v[14:15], v[52:53], v[44:45]
	v_mul_f64 v[44:45], v[8:9], v[62:63]
	ds_read2_b64 v[14:17], v39 offset0:88 offset1:196
	s_waitcnt vmcnt(0)
	v_mul_f64 v[52:53], v[4:5], v[68:69]
	v_fma_f64 v[54:55], v[12:13], v[64:65], v[54:55]
	s_waitcnt lgkmcnt(0)
	v_fma_f64 v[42:43], v[16:17], v[58:59], v[42:43]
	v_fma_f64 v[16:17], v[16:17], v[56:57], -v[6:7]
	v_mul_f64 v[6:7], v[12:13], v[66:67]
	v_fma_f64 v[44:45], v[18:19], v[60:61], -v[44:45]
	v_mul_f64 v[18:19], v[18:19], v[62:63]
	v_mul_f64 v[56:57], v[4:5], v[70:71]
	v_fma_f64 v[52:53], v[14:15], v[70:71], v[52:53]
	v_add_f64 v[12:13], v[46:47], v[40:41]
	v_add_f64 v[62:63], v[10:11], -v[37:38]
	v_add_f64 v[66:67], v[22:23], v[33:34]
	v_fma_f64 v[25:26], v[25:26], v[64:65], -v[6:7]
	ds_read2_b64 v[4:7], v49 offset1:108
	v_fma_f64 v[58:59], v[8:9], v[60:61], v[18:19]
	v_add_f64 v[60:61], v[20:21], v[27:28]
	v_fma_f64 v[8:9], v[14:15], v[68:69], -v[56:57]
	v_add_f64 v[14:15], v[22:23], -v[33:34]
	v_add_f64 v[18:19], v[20:21], -v[27:28]
	v_add_f64 v[56:57], v[10:11], v[37:38]
	s_waitcnt lgkmcnt(0)
	v_add_f64 v[64:65], v[6:7], v[46:47]
	v_add_f64 v[20:21], v[20:21], v[16:17]
	;; [unrolled: 1-line block ×6, first 2 shown]
	v_fma_f64 v[16:17], v[60:61], -0.5, v[16:17]
	v_add_f64 v[46:47], v[46:47], -v[40:41]
	v_add_f64 v[70:71], v[29:30], -v[35:36]
	v_add_f64 v[76:77], v[58:59], v[54:55]
	v_fma_f64 v[42:43], v[56:57], -0.5, v[42:43]
	v_add_f64 v[56:57], v[58:59], -v[54:55]
	v_add_f64 v[39:40], v[64:65], v[40:41]
	v_add_f64 v[64:65], v[29:30], v[35:36]
	v_fma_f64 v[6:7], v[12:13], -0.5, v[6:7]
	v_add_f64 v[12:13], v[27:28], v[20:21]
	v_fma_f64 v[2:3], v[66:67], -0.5, v[2:3]
	v_add_f64 v[22:23], v[22:23], v[33:34]
	v_add_f64 v[33:34], v[37:38], v[10:11]
	v_fma_f64 v[10:11], v[68:69], -0.5, v[4:5]
	v_fma_f64 v[27:28], v[78:79], -0.5, v[8:9]
	v_fma_f64 v[68:69], v[62:63], s[0:1], v[16:17]
	v_fma_f64 v[16:17], v[62:63], s[4:5], v[16:17]
	v_add_f64 v[74:75], v[44:45], -v[25:26]
	v_add_f64 v[60:61], v[4:5], v[72:73]
	v_add_f64 v[44:45], v[44:45], v[8:9]
	v_fma_f64 v[20:21], v[76:77], -0.5, v[52:53]
	v_fma_f64 v[37:38], v[64:65], -0.5, v[0:1]
	v_fma_f64 v[64:65], v[14:15], s[0:1], v[6:7]
	v_fma_f64 v[66:67], v[18:19], s[4:5], v[42:43]
	;; [unrolled: 1-line block ×4, first 2 shown]
	v_add_f64 v[4:5], v[39:40], -v[12:13]
	v_fma_f64 v[18:19], v[46:47], s[4:5], v[2:3]
	v_fma_f64 v[41:42], v[46:47], s[0:1], v[2:3]
	v_add_f64 v[8:9], v[39:40], v[12:13]
	v_fma_f64 v[46:47], v[70:71], s[0:1], v[10:11]
	v_fma_f64 v[12:13], v[56:57], s[0:1], v[27:28]
	;; [unrolled: 1-line block ×3, first 2 shown]
	v_mul_f64 v[56:57], v[68:69], -0.5
	v_mul_f64 v[62:63], v[68:69], s[0:1]
	v_fma_f64 v[68:69], v[70:71], s[4:5], v[10:11]
	v_mul_f64 v[10:11], v[16:17], 0.5
	v_fma_f64 v[39:40], v[74:75], s[4:5], v[20:21]
	v_fma_f64 v[70:71], v[74:75], s[0:1], v[20:21]
	v_mul_f64 v[20:21], v[12:13], -0.5
	v_mul_f64 v[74:75], v[27:28], 0.5
	v_mul_f64 v[76:77], v[27:28], s[0:1]
	v_add_f64 v[72:73], v[72:73], -v[31:32]
	v_mul_f64 v[16:17], v[16:17], s[0:1]
	v_fma_f64 v[27:28], v[14:15], s[4:5], v[10:11]
	v_fma_f64 v[56:57], v[66:67], s[4:5], v[56:57]
	v_fma_f64 v[62:63], v[66:67], -0.5, v[62:63]
	v_mul_f64 v[66:67], v[12:13], s[0:1]
	v_fma_f64 v[80:81], v[39:40], s[4:5], v[20:21]
	v_add_f64 v[0:1], v[0:1], v[29:30]
	v_fma_f64 v[74:75], v[70:71], s[4:5], v[74:75]
	v_fma_f64 v[78:79], v[14:15], 0.5, v[16:17]
	v_add_f64 v[20:21], v[6:7], -v[27:28]
	v_add_f64 v[27:28], v[6:7], v[27:28]
	v_add_f64 v[6:7], v[58:59], v[52:53]
	v_add_f64 v[12:13], v[64:65], -v[56:57]
	v_add_f64 v[10:11], v[18:19], -v[62:63]
	v_add_f64 v[16:17], v[64:65], v[56:57]
	v_add_f64 v[14:15], v[18:19], v[62:63]
	;; [unrolled: 1-line block ×4, first 2 shown]
	v_fma_f64 v[60:61], v[72:73], s[4:5], v[37:38]
	v_fma_f64 v[62:63], v[39:40], -0.5, v[66:67]
	v_fma_f64 v[66:67], v[70:71], 0.5, v[76:77]
	v_add_f64 v[0:1], v[0:1], v[35:36]
	v_add_f64 v[70:71], v[54:55], v[6:7]
	v_fma_f64 v[64:65], v[72:73], s[0:1], v[37:38]
	v_add_f64 v[18:19], v[41:42], -v[78:79]
	v_add_f64 v[25:26], v[41:42], v[78:79]
	v_add_f64 v[39:40], v[52:53], -v[56:57]
	v_add_f64 v[43:44], v[46:47], v[80:81]
	v_add_f64 v[58:59], v[52:53], v[56:57]
	;; [unrolled: 1-line block ×4, first 2 shown]
	v_add_f64 v[2:3], v[22:23], -v[33:34]
	v_add_f64 v[6:7], v[22:23], v[33:34]
	v_add_f64 v[37:38], v[0:1], -v[70:71]
	v_add_f64 v[54:55], v[68:69], v[74:75]
	v_add_f64 v[52:53], v[64:65], v[66:67]
	v_mov_b32_e32 v49, 0
	v_mov_b32_e32 v0, s3
	v_add_co_u32_e32 v22, vcc, s2, v50
	v_addc_co_u32_e32 v23, vcc, v0, v51, vcc
	v_lshlrev_b64 v[0:1], 4, v[48:49]
	v_add_f64 v[35:36], v[68:69], -v[74:75]
	v_add_f64 v[33:34], v[64:65], -v[66:67]
	v_add_co_u32_e32 v0, vcc, v22, v0
	v_addc_co_u32_e32 v1, vcc, v23, v1, vcc
	v_add_co_u32_e32 v22, vcc, s10, v0
	v_addc_co_u32_e32 v23, vcc, 0, v1, vcc
	global_store_dwordx4 v[0:1], v[56:59], off
	global_store_dwordx4 v[0:1], v[52:55], off offset:3456
	global_store_dwordx4 v[22:23], v[41:44], off offset:2816
	v_add_co_u32_e32 v22, vcc, s6, v0
	v_addc_co_u32_e32 v23, vcc, 0, v1, vcc
	s_movk_i32 s0, 0x3000
	v_add_f64 v[31:32], v[46:47], -v[80:81]
	v_add_f64 v[29:30], v[60:61], -v[62:63]
	global_store_dwordx4 v[22:23], v[37:40], off offset:2176
	v_add_co_u32_e32 v22, vcc, s0, v0
	v_addc_co_u32_e32 v23, vcc, 0, v1, vcc
	s_movk_i32 s0, 0x4000
	global_store_dwordx4 v[22:23], v[33:36], off offset:1536
	v_add_co_u32_e32 v22, vcc, s0, v0
	v_lshrrev_b32_e32 v23, 3, v24
	s_mov_b32 s0, 0x97b425f
	v_mul_hi_u32 v24, v23, s0
	v_addc_co_u32_e32 v23, vcc, 0, v1, vcc
	global_store_dwordx4 v[22:23], v[29:32], off offset:896
	v_mul_u32_u24_e32 v48, 0x438, v24
	v_lshlrev_b64 v[22:23], 4, v[48:49]
	v_add_co_u32_e32 v0, vcc, v0, v22
	v_addc_co_u32_e32 v1, vcc, v1, v23, vcc
	v_add_co_u32_e32 v22, vcc, s7, v0
	v_addc_co_u32_e32 v23, vcc, 0, v1, vcc
	global_store_dwordx4 v[0:1], v[6:9], off offset:1728
	global_store_dwordx4 v[22:23], v[25:28], off offset:3456
	v_add_co_u32_e32 v6, vcc, s6, v0
	v_addc_co_u32_e32 v7, vcc, 0, v1, vcc
	global_store_dwordx4 v[6:7], v[14:17], off offset:448
	global_store_dwordx4 v[6:7], v[2:5], off offset:3904
	s_nop 0
	v_add_co_u32_e32 v2, vcc, 0x3000, v0
	v_addc_co_u32_e32 v3, vcc, 0, v1, vcc
	v_add_co_u32_e32 v0, vcc, 0x4000, v0
	v_addc_co_u32_e32 v1, vcc, 0, v1, vcc
	global_store_dwordx4 v[2:3], v[18:21], off offset:3264
	global_store_dwordx4 v[0:1], v[10:13], off offset:2624
.LBB0_13:
	s_endpgm
	.section	.rodata,"a",@progbits
	.p2align	6, 0x0
	.amdhsa_kernel fft_rtc_back_len1296_factors_6_6_6_6_wgs_108_tpt_108_halfLds_dp_ip_CI_unitstride_sbrr_dirReg
		.amdhsa_group_segment_fixed_size 0
		.amdhsa_private_segment_fixed_size 0
		.amdhsa_kernarg_size 88
		.amdhsa_user_sgpr_count 6
		.amdhsa_user_sgpr_private_segment_buffer 1
		.amdhsa_user_sgpr_dispatch_ptr 0
		.amdhsa_user_sgpr_queue_ptr 0
		.amdhsa_user_sgpr_kernarg_segment_ptr 1
		.amdhsa_user_sgpr_dispatch_id 0
		.amdhsa_user_sgpr_flat_scratch_init 0
		.amdhsa_user_sgpr_private_segment_size 0
		.amdhsa_uses_dynamic_stack 0
		.amdhsa_system_sgpr_private_segment_wavefront_offset 0
		.amdhsa_system_sgpr_workgroup_id_x 1
		.amdhsa_system_sgpr_workgroup_id_y 0
		.amdhsa_system_sgpr_workgroup_id_z 0
		.amdhsa_system_sgpr_workgroup_info 0
		.amdhsa_system_vgpr_workitem_id 0
		.amdhsa_next_free_vgpr 84
		.amdhsa_next_free_sgpr 22
		.amdhsa_reserve_vcc 1
		.amdhsa_reserve_flat_scratch 0
		.amdhsa_float_round_mode_32 0
		.amdhsa_float_round_mode_16_64 0
		.amdhsa_float_denorm_mode_32 3
		.amdhsa_float_denorm_mode_16_64 3
		.amdhsa_dx10_clamp 1
		.amdhsa_ieee_mode 1
		.amdhsa_fp16_overflow 0
		.amdhsa_exception_fp_ieee_invalid_op 0
		.amdhsa_exception_fp_denorm_src 0
		.amdhsa_exception_fp_ieee_div_zero 0
		.amdhsa_exception_fp_ieee_overflow 0
		.amdhsa_exception_fp_ieee_underflow 0
		.amdhsa_exception_fp_ieee_inexact 0
		.amdhsa_exception_int_div_zero 0
	.end_amdhsa_kernel
	.text
.Lfunc_end0:
	.size	fft_rtc_back_len1296_factors_6_6_6_6_wgs_108_tpt_108_halfLds_dp_ip_CI_unitstride_sbrr_dirReg, .Lfunc_end0-fft_rtc_back_len1296_factors_6_6_6_6_wgs_108_tpt_108_halfLds_dp_ip_CI_unitstride_sbrr_dirReg
                                        ; -- End function
	.section	.AMDGPU.csdata,"",@progbits
; Kernel info:
; codeLenInByte = 7120
; NumSgprs: 26
; NumVgprs: 84
; ScratchSize: 0
; MemoryBound: 1
; FloatMode: 240
; IeeeMode: 1
; LDSByteSize: 0 bytes/workgroup (compile time only)
; SGPRBlocks: 3
; VGPRBlocks: 20
; NumSGPRsForWavesPerEU: 26
; NumVGPRsForWavesPerEU: 84
; Occupancy: 3
; WaveLimiterHint : 1
; COMPUTE_PGM_RSRC2:SCRATCH_EN: 0
; COMPUTE_PGM_RSRC2:USER_SGPR: 6
; COMPUTE_PGM_RSRC2:TRAP_HANDLER: 0
; COMPUTE_PGM_RSRC2:TGID_X_EN: 1
; COMPUTE_PGM_RSRC2:TGID_Y_EN: 0
; COMPUTE_PGM_RSRC2:TGID_Z_EN: 0
; COMPUTE_PGM_RSRC2:TIDIG_COMP_CNT: 0
	.type	__hip_cuid_68d038145b9fc207,@object ; @__hip_cuid_68d038145b9fc207
	.section	.bss,"aw",@nobits
	.globl	__hip_cuid_68d038145b9fc207
__hip_cuid_68d038145b9fc207:
	.byte	0                               ; 0x0
	.size	__hip_cuid_68d038145b9fc207, 1

	.ident	"AMD clang version 19.0.0git (https://github.com/RadeonOpenCompute/llvm-project roc-6.4.0 25133 c7fe45cf4b819c5991fe208aaa96edf142730f1d)"
	.section	".note.GNU-stack","",@progbits
	.addrsig
	.addrsig_sym __hip_cuid_68d038145b9fc207
	.amdgpu_metadata
---
amdhsa.kernels:
  - .args:
      - .actual_access:  read_only
        .address_space:  global
        .offset:         0
        .size:           8
        .value_kind:     global_buffer
      - .offset:         8
        .size:           8
        .value_kind:     by_value
      - .actual_access:  read_only
        .address_space:  global
        .offset:         16
        .size:           8
        .value_kind:     global_buffer
      - .actual_access:  read_only
        .address_space:  global
        .offset:         24
        .size:           8
        .value_kind:     global_buffer
      - .offset:         32
        .size:           8
        .value_kind:     by_value
      - .actual_access:  read_only
        .address_space:  global
        .offset:         40
        .size:           8
        .value_kind:     global_buffer
      - .actual_access:  read_only
        .address_space:  global
        .offset:         48
        .size:           8
        .value_kind:     global_buffer
      - .offset:         56
        .size:           4
        .value_kind:     by_value
      - .actual_access:  read_only
        .address_space:  global
        .offset:         64
        .size:           8
        .value_kind:     global_buffer
      - .actual_access:  read_only
        .address_space:  global
        .offset:         72
        .size:           8
        .value_kind:     global_buffer
      - .address_space:  global
        .offset:         80
        .size:           8
        .value_kind:     global_buffer
    .group_segment_fixed_size: 0
    .kernarg_segment_align: 8
    .kernarg_segment_size: 88
    .language:       OpenCL C
    .language_version:
      - 2
      - 0
    .max_flat_workgroup_size: 108
    .name:           fft_rtc_back_len1296_factors_6_6_6_6_wgs_108_tpt_108_halfLds_dp_ip_CI_unitstride_sbrr_dirReg
    .private_segment_fixed_size: 0
    .sgpr_count:     26
    .sgpr_spill_count: 0
    .symbol:         fft_rtc_back_len1296_factors_6_6_6_6_wgs_108_tpt_108_halfLds_dp_ip_CI_unitstride_sbrr_dirReg.kd
    .uniform_work_group_size: 1
    .uses_dynamic_stack: false
    .vgpr_count:     84
    .vgpr_spill_count: 0
    .wavefront_size: 64
amdhsa.target:   amdgcn-amd-amdhsa--gfx906
amdhsa.version:
  - 1
  - 2
...

	.end_amdgpu_metadata
